;; amdgpu-corpus repo=ROCm/hip-tests kind=compiled arch=gfx906 opt=O3
	.amdgcn_target "amdgcn-amd-amdhsa--gfx906"
	.amdhsa_code_object_version 6
	.text
	.protected	_Z19sharedMemReadSpeed1Pfm ; -- Begin function _Z19sharedMemReadSpeed1Pfm
	.globl	_Z19sharedMemReadSpeed1Pfm
	.p2align	8
	.type	_Z19sharedMemReadSpeed1Pfm,@function
_Z19sharedMemReadSpeed1Pfm:             ; @_Z19sharedMemReadSpeed1Pfm
; %bb.0:
	s_load_dword s7, s[4:5], 0x1c
	s_load_dwordx4 s[0:3], s[4:5], 0x0
	v_cvt_f32_u32_e32 v2, v0
	s_waitcnt lgkmcnt(0)
	s_and_b32 s4, s7, 0xffff
	s_mul_i32 s6, s6, s4
	v_add_u32_e32 v1, s6, v0
	v_lshlrev_b32_e32 v0, 2, v0
	ds_write2st64_b32 v0, v2, v2 offset1:1
	ds_write2st64_b32 v0, v2, v2 offset0:2 offset1:3
	ds_write2st64_b32 v0, v2, v2 offset0:4 offset1:5
	ds_write2st64_b32 v0, v2, v2 offset0:6 offset1:7
	ds_write2st64_b32 v0, v2, v2 offset0:8 offset1:9
	ds_write2st64_b32 v0, v2, v2 offset0:10 offset1:11
	ds_write2st64_b32 v0, v2, v2 offset0:12 offset1:13
	ds_write2st64_b32 v0, v2, v2 offset0:14 offset1:15
	ds_write2st64_b32 v0, v2, v2 offset0:16 offset1:17
	ds_write2st64_b32 v0, v2, v2 offset0:18 offset1:19
	ds_write2st64_b32 v0, v2, v2 offset0:20 offset1:21
	ds_write2st64_b32 v0, v2, v2 offset0:22 offset1:23
	ds_write2st64_b32 v0, v2, v2 offset0:24 offset1:25
	ds_write2st64_b32 v0, v2, v2 offset0:26 offset1:27
	ds_write2st64_b32 v0, v2, v2 offset0:28 offset1:29
	ds_write2st64_b32 v0, v2, v2 offset0:30 offset1:31
	v_mov_b32_e32 v2, 0
	v_cmp_gt_u64_e32 vcc, s[2:3], v[1:2]
	s_waitcnt lgkmcnt(0)
	s_barrier
	s_and_saveexec_b64 s[2:3], vcc
	s_cbranch_execz .LBB0_2
; %bb.1:
	ds_read2st64_b32 v[3:4], v0 offset0:2 offset1:3
	ds_read2st64_b32 v[5:6], v0 offset0:6 offset1:7
	;; [unrolled: 1-line block ×4, first 2 shown]
	ds_read2st64_b32 v[11:12], v0 offset1:1
	s_waitcnt lgkmcnt(4)
	v_add_f32_e32 v4, 0, v4
	ds_read2st64_b32 v[13:14], v0 offset0:14 offset1:15
	ds_read2st64_b32 v[15:16], v0 offset0:12 offset1:13
	;; [unrolled: 1-line block ×5, first 2 shown]
	s_waitcnt lgkmcnt(8)
	v_add_f32_e32 v4, v4, v6
	s_waitcnt lgkmcnt(7)
	v_add_f32_e32 v4, v4, v8
	;; [unrolled: 2-line block ×3, first 2 shown]
	v_add_f32_e32 v3, 0, v3
	s_waitcnt lgkmcnt(1)
	v_add_f32_e32 v4, v4, v20
	v_add_f32_e32 v3, v3, v5
	ds_read2st64_b32 v[23:24], v0 offset0:20 offset1:21
	ds_read2st64_b32 v[25:26], v0 offset0:16 offset1:17
	s_waitcnt lgkmcnt(2)
	v_add_f32_e32 v20, v4, v22
	v_add_f32_e32 v7, v3, v7
	ds_read2st64_b32 v[3:4], v0 offset0:26 offset1:27
	ds_read2st64_b32 v[5:6], v0 offset0:30 offset1:31
	v_add_f32_e32 v22, v7, v13
	ds_read2st64_b32 v[7:8], v0 offset0:28 offset1:29
	ds_read2st64_b32 v[13:14], v0 offset0:24 offset1:25
	s_waitcnt lgkmcnt(3)
	v_add_f32_e32 v0, v20, v4
	v_add_f32_e32 v4, v22, v19
	;; [unrolled: 1-line block ×4, first 2 shown]
	s_waitcnt lgkmcnt(2)
	v_add_f32_e32 v3, v3, v5
	v_add_f32_e32 v4, 0, v12
	;; [unrolled: 1-line block ×13, first 2 shown]
	s_waitcnt lgkmcnt(0)
	v_add_f32_e32 v4, v4, v14
	v_add_f32_e32 v5, v5, v13
	;; [unrolled: 1-line block ×8, first 2 shown]
	v_lshlrev_b64 v[0:1], 2, v[1:2]
	v_mov_b32_e32 v2, s1
	v_add_co_u32_e32 v0, vcc, s0, v0
	v_addc_co_u32_e32 v1, vcc, v2, v1, vcc
	global_store_dword v[0:1], v3, off
.LBB0_2:
	s_endpgm
	.section	.rodata,"a",@progbits
	.p2align	6, 0x0
	.amdhsa_kernel _Z19sharedMemReadSpeed1Pfm
		.amdhsa_group_segment_fixed_size 8192
		.amdhsa_private_segment_fixed_size 0
		.amdhsa_kernarg_size 272
		.amdhsa_user_sgpr_count 6
		.amdhsa_user_sgpr_private_segment_buffer 1
		.amdhsa_user_sgpr_dispatch_ptr 0
		.amdhsa_user_sgpr_queue_ptr 0
		.amdhsa_user_sgpr_kernarg_segment_ptr 1
		.amdhsa_user_sgpr_dispatch_id 0
		.amdhsa_user_sgpr_flat_scratch_init 0
		.amdhsa_user_sgpr_private_segment_size 0
		.amdhsa_uses_dynamic_stack 0
		.amdhsa_system_sgpr_private_segment_wavefront_offset 0
		.amdhsa_system_sgpr_workgroup_id_x 1
		.amdhsa_system_sgpr_workgroup_id_y 0
		.amdhsa_system_sgpr_workgroup_id_z 0
		.amdhsa_system_sgpr_workgroup_info 0
		.amdhsa_system_vgpr_workitem_id 0
		.amdhsa_next_free_vgpr 29
		.amdhsa_next_free_sgpr 61
		.amdhsa_reserve_vcc 1
		.amdhsa_reserve_flat_scratch 0
		.amdhsa_float_round_mode_32 0
		.amdhsa_float_round_mode_16_64 0
		.amdhsa_float_denorm_mode_32 3
		.amdhsa_float_denorm_mode_16_64 3
		.amdhsa_dx10_clamp 1
		.amdhsa_ieee_mode 1
		.amdhsa_fp16_overflow 0
		.amdhsa_exception_fp_ieee_invalid_op 0
		.amdhsa_exception_fp_denorm_src 0
		.amdhsa_exception_fp_ieee_div_zero 0
		.amdhsa_exception_fp_ieee_overflow 0
		.amdhsa_exception_fp_ieee_underflow 0
		.amdhsa_exception_fp_ieee_inexact 0
		.amdhsa_exception_int_div_zero 0
	.end_amdhsa_kernel
	.text
.Lfunc_end0:
	.size	_Z19sharedMemReadSpeed1Pfm, .Lfunc_end0-_Z19sharedMemReadSpeed1Pfm
                                        ; -- End function
	.set _Z19sharedMemReadSpeed1Pfm.num_vgpr, 27
	.set _Z19sharedMemReadSpeed1Pfm.num_agpr, 0
	.set _Z19sharedMemReadSpeed1Pfm.numbered_sgpr, 8
	.set _Z19sharedMemReadSpeed1Pfm.num_named_barrier, 0
	.set _Z19sharedMemReadSpeed1Pfm.private_seg_size, 0
	.set _Z19sharedMemReadSpeed1Pfm.uses_vcc, 1
	.set _Z19sharedMemReadSpeed1Pfm.uses_flat_scratch, 0
	.set _Z19sharedMemReadSpeed1Pfm.has_dyn_sized_stack, 0
	.set _Z19sharedMemReadSpeed1Pfm.has_recursion, 0
	.set _Z19sharedMemReadSpeed1Pfm.has_indirect_call, 0
	.section	.AMDGPU.csdata,"",@progbits
; Kernel info:
; codeLenInByte = 532
; TotalNumSgprs: 12
; NumVgprs: 27
; ScratchSize: 0
; MemoryBound: 1
; FloatMode: 240
; IeeeMode: 1
; LDSByteSize: 8192 bytes/workgroup (compile time only)
; SGPRBlocks: 8
; VGPRBlocks: 7
; NumSGPRsForWavesPerEU: 65
; NumVGPRsForWavesPerEU: 29
; Occupancy: 8
; WaveLimiterHint : 1
; COMPUTE_PGM_RSRC2:SCRATCH_EN: 0
; COMPUTE_PGM_RSRC2:USER_SGPR: 6
; COMPUTE_PGM_RSRC2:TRAP_HANDLER: 0
; COMPUTE_PGM_RSRC2:TGID_X_EN: 1
; COMPUTE_PGM_RSRC2:TGID_Y_EN: 0
; COMPUTE_PGM_RSRC2:TGID_Z_EN: 0
; COMPUTE_PGM_RSRC2:TIDIG_COMP_CNT: 0
	.text
	.protected	_Z19sharedMemReadSpeed2Pfm ; -- Begin function _Z19sharedMemReadSpeed2Pfm
	.globl	_Z19sharedMemReadSpeed2Pfm
	.p2align	8
	.type	_Z19sharedMemReadSpeed2Pfm,@function
_Z19sharedMemReadSpeed2Pfm:             ; @_Z19sharedMemReadSpeed2Pfm
; %bb.0:
	v_cvt_f32_u32_e32 v1, v0
	s_load_dword s7, s[4:5], 0x1c
	v_lshlrev_b32_e32 v2, 2, v0
	s_mov_b32 s0, 0
	ds_write2st64_b32 v2, v1, v1 offset1:1
	ds_write2st64_b32 v2, v1, v1 offset0:2 offset1:3
	v_mov_b32_e32 v2, 0
	v_mov_b32_e32 v3, 0
	s_waitcnt lgkmcnt(0)
	s_barrier
.LBB1_1:                                ; =>This Inner Loop Header: Depth=1
	v_mov_b32_e32 v1, s0
	ds_read_b128 v[4:7], v1
	ds_read_b128 v[8:11], v1 offset:16
	s_add_i32 s0, s0, 32
	s_cmpk_eq_i32 s0, 0x400
	s_waitcnt lgkmcnt(1)
	v_add_f32_e32 v1, v3, v4
	v_add_f32_e32 v2, v2, v5
	;; [unrolled: 1-line block ×4, first 2 shown]
	s_waitcnt lgkmcnt(0)
	v_add_f32_e32 v1, v1, v8
	v_add_f32_e32 v2, v2, v9
	;; [unrolled: 1-line block ×4, first 2 shown]
	s_cbranch_scc0 .LBB1_1
; %bb.2:
	s_load_dwordx4 s[0:3], s[4:5], 0x0
	s_and_b32 s4, 0xffff, s7
	s_mul_i32 s6, s6, s4
	v_add_u32_e32 v0, s6, v0
	v_mov_b32_e32 v1, 0
	s_waitcnt lgkmcnt(0)
	v_cmp_gt_u64_e32 vcc, s[2:3], v[0:1]
	s_and_saveexec_b64 s[2:3], vcc
	s_cbranch_execz .LBB1_4
; %bb.3:
	v_lshlrev_b64 v[0:1], 2, v[0:1]
	v_mov_b32_e32 v4, s1
	v_add_co_u32_e32 v0, vcc, s0, v0
	v_addc_co_u32_e32 v1, vcc, v4, v1, vcc
	v_add_f32_e32 v2, v3, v2
	global_store_dword v[0:1], v2, off
.LBB1_4:
	s_endpgm
	.section	.rodata,"a",@progbits
	.p2align	6, 0x0
	.amdhsa_kernel _Z19sharedMemReadSpeed2Pfm
		.amdhsa_group_segment_fixed_size 1024
		.amdhsa_private_segment_fixed_size 0
		.amdhsa_kernarg_size 272
		.amdhsa_user_sgpr_count 6
		.amdhsa_user_sgpr_private_segment_buffer 1
		.amdhsa_user_sgpr_dispatch_ptr 0
		.amdhsa_user_sgpr_queue_ptr 0
		.amdhsa_user_sgpr_kernarg_segment_ptr 1
		.amdhsa_user_sgpr_dispatch_id 0
		.amdhsa_user_sgpr_flat_scratch_init 0
		.amdhsa_user_sgpr_private_segment_size 0
		.amdhsa_uses_dynamic_stack 0
		.amdhsa_system_sgpr_private_segment_wavefront_offset 0
		.amdhsa_system_sgpr_workgroup_id_x 1
		.amdhsa_system_sgpr_workgroup_id_y 0
		.amdhsa_system_sgpr_workgroup_id_z 0
		.amdhsa_system_sgpr_workgroup_info 0
		.amdhsa_system_vgpr_workitem_id 0
		.amdhsa_next_free_vgpr 12
		.amdhsa_next_free_sgpr 8
		.amdhsa_reserve_vcc 1
		.amdhsa_reserve_flat_scratch 0
		.amdhsa_float_round_mode_32 0
		.amdhsa_float_round_mode_16_64 0
		.amdhsa_float_denorm_mode_32 3
		.amdhsa_float_denorm_mode_16_64 3
		.amdhsa_dx10_clamp 1
		.amdhsa_ieee_mode 1
		.amdhsa_fp16_overflow 0
		.amdhsa_exception_fp_ieee_invalid_op 0
		.amdhsa_exception_fp_denorm_src 0
		.amdhsa_exception_fp_ieee_div_zero 0
		.amdhsa_exception_fp_ieee_overflow 0
		.amdhsa_exception_fp_ieee_underflow 0
		.amdhsa_exception_fp_ieee_inexact 0
		.amdhsa_exception_int_div_zero 0
	.end_amdhsa_kernel
	.text
.Lfunc_end1:
	.size	_Z19sharedMemReadSpeed2Pfm, .Lfunc_end1-_Z19sharedMemReadSpeed2Pfm
                                        ; -- End function
	.set _Z19sharedMemReadSpeed2Pfm.num_vgpr, 12
	.set _Z19sharedMemReadSpeed2Pfm.num_agpr, 0
	.set _Z19sharedMemReadSpeed2Pfm.numbered_sgpr, 8
	.set _Z19sharedMemReadSpeed2Pfm.num_named_barrier, 0
	.set _Z19sharedMemReadSpeed2Pfm.private_seg_size, 0
	.set _Z19sharedMemReadSpeed2Pfm.uses_vcc, 1
	.set _Z19sharedMemReadSpeed2Pfm.uses_flat_scratch, 0
	.set _Z19sharedMemReadSpeed2Pfm.has_dyn_sized_stack, 0
	.set _Z19sharedMemReadSpeed2Pfm.has_recursion, 0
	.set _Z19sharedMemReadSpeed2Pfm.has_indirect_call, 0
	.section	.AMDGPU.csdata,"",@progbits
; Kernel info:
; codeLenInByte = 204
; TotalNumSgprs: 12
; NumVgprs: 12
; ScratchSize: 0
; MemoryBound: 0
; FloatMode: 240
; IeeeMode: 1
; LDSByteSize: 1024 bytes/workgroup (compile time only)
; SGPRBlocks: 1
; VGPRBlocks: 2
; NumSGPRsForWavesPerEU: 12
; NumVGPRsForWavesPerEU: 12
; Occupancy: 10
; WaveLimiterHint : 0
; COMPUTE_PGM_RSRC2:SCRATCH_EN: 0
; COMPUTE_PGM_RSRC2:USER_SGPR: 6
; COMPUTE_PGM_RSRC2:TRAP_HANDLER: 0
; COMPUTE_PGM_RSRC2:TGID_X_EN: 1
; COMPUTE_PGM_RSRC2:TGID_Y_EN: 0
; COMPUTE_PGM_RSRC2:TGID_Z_EN: 0
; COMPUTE_PGM_RSRC2:TIDIG_COMP_CNT: 0
	.section	.AMDGPU.gpr_maximums,"",@progbits
	.set amdgpu.max_num_vgpr, 0
	.set amdgpu.max_num_agpr, 0
	.set amdgpu.max_num_sgpr, 0
	.section	.AMDGPU.csdata,"",@progbits
	.type	__hip_cuid_a41cf3fa0ca70e8f,@object ; @__hip_cuid_a41cf3fa0ca70e8f
	.section	.bss,"aw",@nobits
	.globl	__hip_cuid_a41cf3fa0ca70e8f
__hip_cuid_a41cf3fa0ca70e8f:
	.byte	0                               ; 0x0
	.size	__hip_cuid_a41cf3fa0ca70e8f, 1

	.ident	"AMD clang version 22.0.0git (https://github.com/RadeonOpenCompute/llvm-project roc-7.2.4 26084 f58b06dce1f9c15707c5f808fd002e18c2accf7e)"
	.section	".note.GNU-stack","",@progbits
	.addrsig
	.addrsig_sym __hip_cuid_a41cf3fa0ca70e8f
	.amdgpu_metadata
---
amdhsa.kernels:
  - .args:
      - .address_space:  global
        .offset:         0
        .size:           8
        .value_kind:     global_buffer
      - .offset:         8
        .size:           8
        .value_kind:     by_value
      - .offset:         16
        .size:           4
        .value_kind:     hidden_block_count_x
      - .offset:         20
        .size:           4
        .value_kind:     hidden_block_count_y
      - .offset:         24
        .size:           4
        .value_kind:     hidden_block_count_z
      - .offset:         28
        .size:           2
        .value_kind:     hidden_group_size_x
      - .offset:         30
        .size:           2
        .value_kind:     hidden_group_size_y
      - .offset:         32
        .size:           2
        .value_kind:     hidden_group_size_z
      - .offset:         34
        .size:           2
        .value_kind:     hidden_remainder_x
      - .offset:         36
        .size:           2
        .value_kind:     hidden_remainder_y
      - .offset:         38
        .size:           2
        .value_kind:     hidden_remainder_z
      - .offset:         56
        .size:           8
        .value_kind:     hidden_global_offset_x
      - .offset:         64
        .size:           8
        .value_kind:     hidden_global_offset_y
      - .offset:         72
        .size:           8
        .value_kind:     hidden_global_offset_z
      - .offset:         80
        .size:           2
        .value_kind:     hidden_grid_dims
    .group_segment_fixed_size: 8192
    .kernarg_segment_align: 8
    .kernarg_segment_size: 272
    .language:       OpenCL C
    .language_version:
      - 2
      - 0
    .max_flat_workgroup_size: 1024
    .name:           _Z19sharedMemReadSpeed1Pfm
    .private_segment_fixed_size: 0
    .sgpr_count:     12
    .sgpr_spill_count: 0
    .symbol:         _Z19sharedMemReadSpeed1Pfm.kd
    .uniform_work_group_size: 1
    .uses_dynamic_stack: false
    .vgpr_count:     27
    .vgpr_spill_count: 0
    .wavefront_size: 64
  - .args:
      - .address_space:  global
        .offset:         0
        .size:           8
        .value_kind:     global_buffer
      - .offset:         8
        .size:           8
        .value_kind:     by_value
      - .offset:         16
        .size:           4
        .value_kind:     hidden_block_count_x
      - .offset:         20
        .size:           4
        .value_kind:     hidden_block_count_y
      - .offset:         24
        .size:           4
        .value_kind:     hidden_block_count_z
      - .offset:         28
        .size:           2
        .value_kind:     hidden_group_size_x
      - .offset:         30
        .size:           2
        .value_kind:     hidden_group_size_y
      - .offset:         32
        .size:           2
        .value_kind:     hidden_group_size_z
      - .offset:         34
        .size:           2
        .value_kind:     hidden_remainder_x
      - .offset:         36
        .size:           2
        .value_kind:     hidden_remainder_y
      - .offset:         38
        .size:           2
        .value_kind:     hidden_remainder_z
      - .offset:         56
        .size:           8
        .value_kind:     hidden_global_offset_x
      - .offset:         64
        .size:           8
        .value_kind:     hidden_global_offset_y
      - .offset:         72
        .size:           8
        .value_kind:     hidden_global_offset_z
      - .offset:         80
        .size:           2
        .value_kind:     hidden_grid_dims
    .group_segment_fixed_size: 1024
    .kernarg_segment_align: 8
    .kernarg_segment_size: 272
    .language:       OpenCL C
    .language_version:
      - 2
      - 0
    .max_flat_workgroup_size: 1024
    .name:           _Z19sharedMemReadSpeed2Pfm
    .private_segment_fixed_size: 0
    .sgpr_count:     12
    .sgpr_spill_count: 0
    .symbol:         _Z19sharedMemReadSpeed2Pfm.kd
    .uniform_work_group_size: 1
    .uses_dynamic_stack: false
    .vgpr_count:     12
    .vgpr_spill_count: 0
    .wavefront_size: 64
amdhsa.target:   amdgcn-amd-amdhsa--gfx906
amdhsa.version:
  - 1
  - 2
...

	.end_amdgpu_metadata
